;; amdgpu-corpus repo=ROCm/rocFFT kind=compiled arch=gfx1201 opt=O3
	.text
	.amdgcn_target "amdgcn-amd-amdhsa--gfx1201"
	.amdhsa_code_object_version 6
	.protected	bluestein_single_back_len36_dim1_sp_op_CI_CI ; -- Begin function bluestein_single_back_len36_dim1_sp_op_CI_CI
	.globl	bluestein_single_back_len36_dim1_sp_op_CI_CI
	.p2align	8
	.type	bluestein_single_back_len36_dim1_sp_op_CI_CI,@function
bluestein_single_back_len36_dim1_sp_op_CI_CI: ; @bluestein_single_back_len36_dim1_sp_op_CI_CI
; %bb.0:
	s_load_b128 s[16:19], s[0:1], 0x28
	v_mul_u32_u24_e32 v1, 0x2aab, v0
	s_mov_b32 s2, exec_lo
	s_delay_alu instid0(VALU_DEP_1) | instskip(NEXT) | instid1(VALU_DEP_1)
	v_lshrrev_b32_e32 v3, 16, v1
	v_mad_co_u64_u32 v[1:2], null, ttmp9, 10, v[3:4]
	v_mov_b32_e32 v2, 0
	s_wait_kmcnt 0x0
	s_delay_alu instid0(VALU_DEP_1)
	v_cmpx_gt_u64_e64 s[16:17], v[1:2]
	s_cbranch_execz .LBB0_2
; %bb.1:
	s_clause 0x1
	s_load_b128 s[4:7], s[0:1], 0x18
	s_load_b128 s[8:11], s[0:1], 0x0
	v_mul_lo_u16 v2, v3, 6
	s_load_b64 s[0:1], s[0:1], 0x38
	s_delay_alu instid0(VALU_DEP_1) | instskip(NEXT) | instid1(VALU_DEP_1)
	v_sub_nc_u16 v33, v0, v2
	v_and_b32_e32 v0, 0xffff, v33
	s_wait_kmcnt 0x0
	s_load_b128 s[12:15], s[4:5], 0x0
	s_wait_kmcnt 0x0
	v_mad_co_u64_u32 v[2:3], null, s14, v1, 0
	v_mad_co_u64_u32 v[4:5], null, s12, v0, 0
	s_mul_u64 s[2:3], s[12:13], 48
	s_delay_alu instid0(VALU_DEP_1) | instskip(NEXT) | instid1(VALU_DEP_1)
	v_mad_co_u64_u32 v[6:7], null, s15, v1, v[3:4]
	v_mov_b32_e32 v3, v6
	s_delay_alu instid0(VALU_DEP_3) | instskip(SKIP_1) | instid1(VALU_DEP_3)
	v_mad_co_u64_u32 v[7:8], null, s13, v0, v[5:6]
	v_or_b32_e32 v14, 24, v0
	v_lshlrev_b64_e32 v[2:3], 3, v[2:3]
	s_delay_alu instid0(VALU_DEP_2) | instskip(NEXT) | instid1(VALU_DEP_4)
	v_mad_co_u64_u32 v[8:9], null, s12, v14, 0
	v_mov_b32_e32 v5, v7
	s_delay_alu instid0(VALU_DEP_3) | instskip(NEXT) | instid1(VALU_DEP_4)
	v_add_co_u32 v25, vcc_lo, s18, v2
	v_add_co_ci_u32_e32 v26, vcc_lo, s19, v3, vcc_lo
	s_delay_alu instid0(VALU_DEP_3) | instskip(NEXT) | instid1(VALU_DEP_1)
	v_lshlrev_b64_e32 v[4:5], 3, v[4:5]
	v_add_co_u32 v2, vcc_lo, v25, v4
	v_mov_b32_e32 v4, v9
	s_wait_alu 0xfffd
	s_delay_alu instid0(VALU_DEP_3) | instskip(NEXT) | instid1(VALU_DEP_3)
	v_add_co_ci_u32_e32 v3, vcc_lo, v26, v5, vcc_lo
	v_add_co_u32 v10, vcc_lo, v2, s2
	s_delay_alu instid0(VALU_DEP_3) | instskip(SKIP_4) | instid1(VALU_DEP_4)
	v_mad_co_u64_u32 v[4:5], null, s13, v14, v[4:5]
	v_lshlrev_b32_e32 v48, 3, v0
	s_wait_alu 0xfffd
	v_add_co_ci_u32_e32 v11, vcc_lo, s3, v3, vcc_lo
	v_add_co_u32 v12, vcc_lo, v10, s2
	v_mov_b32_e32 v9, v4
	global_load_b64 v[19:20], v[2:3], off
	s_clause 0x2
	global_load_b64 v[6:7], v48, s[8:9]
	global_load_b64 v[4:5], v48, s[8:9] offset:48
	global_load_b64 v[2:3], v48, s[8:9] offset:96
	s_wait_alu 0xfffd
	v_add_co_ci_u32_e32 v13, vcc_lo, s3, v11, vcc_lo
	s_clause 0x1
	global_load_b64 v[21:22], v[10:11], off
	global_load_b64 v[23:24], v[12:13], off
	v_add_co_u32 v15, vcc_lo, v12, s2
	s_wait_alu 0xfffd
	v_add_co_ci_u32_e32 v16, vcc_lo, s3, v13, vcc_lo
	v_lshlrev_b64_e32 v[8:9], 3, v[8:9]
	s_add_nc_u64 s[2:3], s[8:9], 0x120
	s_delay_alu instid0(VALU_DEP_2) | instskip(SKIP_1) | instid1(VALU_DEP_1)
	v_mad_co_u64_u32 v[17:18], null, 0x60, s12, v[15:16]
	s_wait_loadcnt 0x5
	v_mad_co_u64_u32 v[10:11], null, 0x60, s13, v[18:19]
	s_delay_alu instid0(VALU_DEP_3)
	v_add_co_u32 v11, vcc_lo, v25, v8
	s_wait_alu 0xfffd
	v_add_co_ci_u32_e32 v12, vcc_lo, v26, v9, vcc_lo
	global_load_b64 v[8:9], v48, s[8:9] offset:144
	global_load_b64 v[25:26], v[15:16], off
	v_mul_hi_u32 v15, 0xcccccccd, v1
	s_wait_loadcnt 0x6
	v_mul_f32_e32 v30, v19, v7
	s_wait_loadcnt 0x2
	v_dual_mul_f32 v32, v21, v5 :: v_dual_mul_f32 v35, v23, v3
	v_mul_f32_e32 v29, v22, v5
	v_mul_f32_e32 v31, v24, v3
	v_lshrrev_b32_e32 v15, 3, v15
	s_delay_alu instid0(VALU_DEP_3) | instskip(NEXT) | instid1(VALU_DEP_3)
	v_fmac_f32_e32 v29, v21, v4
	v_fmac_f32_e32 v31, v23, v2
	s_delay_alu instid0(VALU_DEP_3) | instskip(NEXT) | instid1(VALU_DEP_1)
	v_mul_lo_u32 v15, v15, 10
	v_sub_nc_u32_e32 v15, v1, v15
	s_delay_alu instid0(VALU_DEP_1) | instskip(NEXT) | instid1(VALU_DEP_1)
	v_mul_u32_u24_e32 v15, 36, v15
	v_lshlrev_b32_e32 v34, 3, v15
	s_delay_alu instid0(VALU_DEP_1)
	v_dual_mov_b32 v18, v10 :: v_dual_add_nc_u32 v15, v48, v34
	global_load_b64 v[27:28], v[11:12], off
	s_clause 0x1
	global_load_b64 v[10:11], v48, s[8:9] offset:192
	global_load_b64 v[12:13], v48, s[8:9] offset:240
	global_load_b64 v[16:17], v[17:18], off
	v_mul_f32_e32 v18, v20, v7
	s_load_b128 s[4:7], s[6:7], 0x0
	s_wait_loadcnt 0x4
	s_delay_alu instid0(VALU_DEP_1)
	v_dual_fmac_f32 v18, v19, v6 :: v_dual_mul_f32 v21, v25, v9
	v_fma_f32 v19, v20, v6, -v30
	v_mul_f32_e32 v20, v26, v9
	v_fma_f32 v30, v22, v4, -v32
	v_fma_f32 v32, v24, v2, -v35
	v_fma_f32 v21, v26, v8, -v21
	s_delay_alu instid0(VALU_DEP_4) | instskip(SKIP_4) | instid1(VALU_DEP_2)
	v_fmac_f32_e32 v20, v25, v8
	s_wait_loadcnt 0x2
	v_mul_f32_e32 v22, v28, v11
	s_wait_loadcnt 0x0
	v_dual_mul_f32 v23, v27, v11 :: v_dual_mul_f32 v24, v17, v13
	v_dual_mul_f32 v25, v16, v13 :: v_dual_fmac_f32 v22, v27, v10
	s_delay_alu instid0(VALU_DEP_2) | instskip(NEXT) | instid1(VALU_DEP_3)
	v_fma_f32 v23, v28, v10, -v23
	v_fmac_f32_e32 v24, v16, v12
	s_delay_alu instid0(VALU_DEP_3)
	v_fma_f32 v25, v17, v12, -v25
	ds_store_2addr_b64 v15, v[18:19], v[29:30] offset1:6
	ds_store_2addr_b64 v15, v[31:32], v[20:21] offset0:12 offset1:18
	ds_store_2addr_b64 v15, v[22:23], v[24:25] offset0:24 offset1:30
	global_wb scope:SCOPE_SE
	s_wait_dscnt 0x0
	s_wait_kmcnt 0x0
	s_barrier_signal -1
	s_barrier_wait -1
	global_inv scope:SCOPE_SE
	ds_load_2addr_b64 v[16:19], v15 offset1:6
	ds_load_2addr_b64 v[20:23], v15 offset0:12 offset1:18
	ds_load_2addr_b64 v[24:27], v15 offset0:24 offset1:30
	v_mul_lo_u16 v28, v33, 6
	global_wb scope:SCOPE_SE
	s_wait_dscnt 0x0
	s_barrier_signal -1
	s_barrier_wait -1
	global_inv scope:SCOPE_SE
	v_and_b32_e32 v30, 0xffff, v28
	v_mad_co_u64_u32 v[28:29], null, v0, 40, s[10:11]
	v_add_f32_e32 v37, v19, v23
	s_delay_alu instid0(VALU_DEP_3)
	v_lshl_add_u32 v51, v30, 3, v34
	v_add_f32_e32 v30, v16, v20
	v_dual_add_f32 v31, v20, v24 :: v_dual_sub_f32 v32, v21, v25
	v_add_f32_e32 v33, v17, v21
	v_add_f32_e32 v21, v21, v25
	v_dual_add_f32 v35, v22, v26 :: v_dual_sub_f32 v36, v23, v27
	v_dual_add_f32 v23, v23, v27 :: v_dual_sub_f32 v20, v20, v24
	s_delay_alu instid0(VALU_DEP_4) | instskip(NEXT) | instid1(VALU_DEP_3)
	v_dual_add_f32 v25, v33, v25 :: v_dual_add_f32 v34, v18, v22
	v_fma_f32 v18, -0.5, v35, v18
	s_delay_alu instid0(VALU_DEP_3) | instskip(SKIP_4) | instid1(VALU_DEP_4)
	v_dual_fmac_f32 v19, -0.5, v23 :: v_dual_add_f32 v24, v30, v24
	v_fma_f32 v30, -0.5, v31, v16
	v_sub_f32_e32 v22, v22, v26
	v_fma_f32 v31, -0.5, v21, v17
	v_dual_add_f32 v21, v34, v26 :: v_dual_add_f32 v26, v37, v27
	v_fmamk_f32 v27, v32, 0x3f5db3d7, v30
	s_delay_alu instid0(VALU_DEP_4) | instskip(NEXT) | instid1(VALU_DEP_4)
	v_dual_fmac_f32 v30, 0xbf5db3d7, v32 :: v_dual_fmamk_f32 v23, v22, 0xbf5db3d7, v19
	v_fmamk_f32 v32, v20, 0xbf5db3d7, v31
	v_fmac_f32_e32 v31, 0x3f5db3d7, v20
	v_dual_add_f32 v17, v25, v26 :: v_dual_fmamk_f32 v20, v36, 0x3f5db3d7, v18
	s_delay_alu instid0(VALU_DEP_4) | instskip(SKIP_1) | instid1(VALU_DEP_3)
	v_mul_f32_e32 v33, 0x3f5db3d7, v23
	v_dual_fmac_f32 v19, 0x3f5db3d7, v22 :: v_dual_add_f32 v16, v24, v21
	v_mul_f32_e32 v35, 0xbf5db3d7, v20
	v_fmac_f32_e32 v18, 0xbf5db3d7, v36
	s_delay_alu instid0(VALU_DEP_3) | instskip(NEXT) | instid1(VALU_DEP_3)
	v_dual_mul_f32 v36, -0.5, v19 :: v_dual_fmac_f32 v33, 0.5, v20
	v_fmac_f32_e32 v35, 0.5, v23
	v_sub_f32_e32 v23, v25, v26
	s_delay_alu instid0(VALU_DEP_4) | instskip(NEXT) | instid1(VALU_DEP_4)
	v_mul_f32_e32 v34, -0.5, v18
	v_fmac_f32_e32 v36, 0xbf5db3d7, v18
	s_delay_alu instid0(VALU_DEP_4) | instskip(NEXT) | instid1(VALU_DEP_3)
	v_dual_add_f32 v18, v27, v33 :: v_dual_sub_f32 v25, v32, v35
	v_fmac_f32_e32 v34, 0x3f5db3d7, v19
	v_add_f32_e32 v19, v32, v35
	s_delay_alu instid0(VALU_DEP_4) | instskip(SKIP_1) | instid1(VALU_DEP_4)
	v_dual_sub_f32 v22, v24, v21 :: v_dual_add_f32 v21, v31, v36
	v_sub_f32_e32 v24, v27, v33
	v_dual_sub_f32 v27, v31, v36 :: v_dual_add_f32 v20, v30, v34
	v_sub_f32_e32 v26, v30, v34
	ds_store_b128 v51, v[16:19]
	ds_store_b128 v51, v[20:23] offset:16
	ds_store_b128 v51, v[24:27] offset:32
	global_wb scope:SCOPE_SE
	s_wait_dscnt 0x0
	s_barrier_signal -1
	s_barrier_wait -1
	global_inv scope:SCOPE_SE
	s_clause 0x2
	global_load_b128 v[16:19], v[28:29], off
	global_load_b128 v[20:23], v[28:29], off offset:16
	global_load_b64 v[36:37], v[28:29], off offset:32
	ds_load_2addr_b64 v[24:27], v15 offset1:6
	ds_load_2addr_b64 v[28:31], v15 offset0:12 offset1:18
	ds_load_2addr_b64 v[32:35], v15 offset0:24 offset1:30
	s_wait_loadcnt_dscnt 0x201
	v_dual_mul_f32 v39, v26, v17 :: v_dual_mul_f32 v40, v29, v19
	v_dual_mul_f32 v41, v28, v19 :: v_dual_mul_f32 v38, v27, v17
	s_wait_loadcnt_dscnt 0x100
	v_dual_mul_f32 v43, v30, v21 :: v_dual_mul_f32 v44, v33, v23
	v_dual_mul_f32 v45, v32, v23 :: v_dual_mul_f32 v42, v31, v21
	s_delay_alu instid0(VALU_DEP_3) | instskip(SKIP_2) | instid1(VALU_DEP_4)
	v_fmac_f32_e32 v41, v29, v18
	v_fma_f32 v38, v26, v16, -v38
	v_fma_f32 v26, v28, v18, -v40
	v_fmac_f32_e32 v45, v33, v22
	s_wait_loadcnt 0x0
	v_mul_f32_e32 v47, v34, v37
	v_fma_f32 v28, v32, v22, -v44
	v_mul_f32_e32 v46, v35, v37
	v_fmac_f32_e32 v39, v27, v16
	v_fma_f32 v27, v30, v20, -v42
	v_dual_fmac_f32 v43, v31, v20 :: v_dual_sub_f32 v32, v41, v45
	v_dual_add_f32 v30, v24, v26 :: v_dual_fmac_f32 v47, v35, v36
	v_add_f32_e32 v31, v26, v28
	v_fma_f32 v29, v34, v36, -v46
	v_add_f32_e32 v34, v41, v45
	v_dual_add_f32 v33, v25, v41 :: v_dual_sub_f32 v26, v26, v28
	s_delay_alu instid0(VALU_DEP_3)
	v_dual_add_f32 v35, v38, v27 :: v_dual_add_f32 v40, v27, v29
	v_dual_sub_f32 v41, v43, v47 :: v_dual_add_f32 v28, v30, v28
	v_fma_f32 v44, -0.5, v31, v24
	v_add_f32_e32 v42, v39, v43
	v_dual_add_f32 v43, v43, v47 :: v_dual_add_f32 v30, v33, v45
	v_dual_sub_f32 v27, v27, v29 :: v_dual_fmac_f32 v38, -0.5, v40
	s_delay_alu instid0(VALU_DEP_4) | instskip(NEXT) | instid1(VALU_DEP_3)
	v_fmamk_f32 v33, v32, 0x3f5db3d7, v44
	v_fmac_f32_e32 v39, -0.5, v43
	v_add_f32_e32 v31, v42, v47
	v_fma_f32 v45, -0.5, v34, v25
	v_dual_add_f32 v29, v35, v29 :: v_dual_fmac_f32 v44, 0xbf5db3d7, v32
	v_fmamk_f32 v32, v41, 0x3f5db3d7, v38
	v_fmac_f32_e32 v38, 0xbf5db3d7, v41
	v_dual_fmamk_f32 v34, v27, 0xbf5db3d7, v39 :: v_dual_add_f32 v25, v30, v31
	v_fmac_f32_e32 v39, 0x3f5db3d7, v27
	s_delay_alu instid0(VALU_DEP_3) | instskip(NEXT) | instid1(VALU_DEP_3)
	v_dual_mul_f32 v42, 0xbf5db3d7, v32 :: v_dual_mul_f32 v41, -0.5, v38
	v_mul_f32_e32 v40, 0x3f5db3d7, v34
	v_dual_fmamk_f32 v35, v26, 0xbf5db3d7, v45 :: v_dual_add_f32 v24, v28, v29
	s_delay_alu instid0(VALU_DEP_4) | instskip(NEXT) | instid1(VALU_DEP_4)
	v_mul_f32_e32 v43, -0.5, v39
	v_dual_fmac_f32 v41, 0x3f5db3d7, v39 :: v_dual_fmac_f32 v42, 0.5, v34
	s_delay_alu instid0(VALU_DEP_4) | instskip(NEXT) | instid1(VALU_DEP_3)
	v_dual_fmac_f32 v40, 0.5, v32 :: v_dual_fmac_f32 v45, 0x3f5db3d7, v26
	v_dual_sub_f32 v26, v28, v29 :: v_dual_fmac_f32 v43, 0xbf5db3d7, v38
	s_delay_alu instid0(VALU_DEP_2) | instskip(SKIP_1) | instid1(VALU_DEP_3)
	v_dual_add_f32 v29, v35, v42 :: v_dual_sub_f32 v32, v33, v40
	v_dual_add_f32 v28, v33, v40 :: v_dual_sub_f32 v27, v30, v31
	v_dual_add_f32 v30, v44, v41 :: v_dual_add_f32 v31, v45, v43
	v_dual_sub_f32 v34, v44, v41 :: v_dual_sub_f32 v33, v35, v42
	v_sub_f32_e32 v35, v45, v43
	ds_store_2addr_b64 v15, v[24:25], v[28:29] offset1:6
	ds_store_2addr_b64 v15, v[30:31], v[26:27] offset0:12 offset1:18
	ds_store_2addr_b64 v15, v[32:33], v[34:35] offset0:24 offset1:30
	global_wb scope:SCOPE_SE
	s_wait_dscnt 0x0
	s_barrier_signal -1
	s_barrier_wait -1
	global_inv scope:SCOPE_SE
	s_clause 0x5
	global_load_b64 v[38:39], v48, s[8:9] offset:288
	global_load_b64 v[40:41], v48, s[2:3] offset:48
	;; [unrolled: 1-line block ×6, first 2 shown]
	ds_load_2addr_b64 v[24:27], v15 offset1:6
	ds_load_2addr_b64 v[28:31], v15 offset0:12 offset1:18
	ds_load_2addr_b64 v[32:35], v15 offset0:24 offset1:30
	s_mov_b32 s2, 0x1c71c71c
	s_mov_b32 s3, 0x3f9c71c7
	s_wait_loadcnt_dscnt 0x502
	v_mul_f32_e32 v52, v25, v39
	s_wait_loadcnt 0x4
	v_dual_mul_f32 v50, v24, v39 :: v_dual_mul_f32 v53, v27, v41
	s_wait_loadcnt_dscnt 0x301
	v_dual_mul_f32 v39, v26, v41 :: v_dual_mul_f32 v54, v29, v43
	s_delay_alu instid0(VALU_DEP_2)
	v_dual_mul_f32 v41, v28, v43 :: v_dual_fmac_f32 v50, v25, v38
	s_wait_loadcnt_dscnt 0x100
	v_dual_mul_f32 v55, v31, v45 :: v_dual_mul_f32 v56, v33, v47
	v_mul_f32_e32 v43, v30, v45
	v_mul_f32_e32 v45, v32, v47
	s_wait_loadcnt 0x0
	v_mul_f32_e32 v57, v35, v49
	v_mul_f32_e32 v47, v34, v49
	v_fma_f32 v49, v24, v38, -v52
	v_fma_f32 v38, v26, v40, -v53
	v_fmac_f32_e32 v39, v27, v40
	v_fma_f32 v40, v28, v42, -v54
	v_fmac_f32_e32 v41, v29, v42
	;; [unrolled: 2-line block ×5, first 2 shown]
	ds_store_2addr_b64 v15, v[49:50], v[38:39] offset1:6
	ds_store_2addr_b64 v15, v[40:41], v[42:43] offset0:12 offset1:18
	ds_store_2addr_b64 v15, v[44:45], v[46:47] offset0:24 offset1:30
	global_wb scope:SCOPE_SE
	s_wait_dscnt 0x0
	s_barrier_signal -1
	s_barrier_wait -1
	global_inv scope:SCOPE_SE
	ds_load_2addr_b64 v[24:27], v15 offset1:6
	ds_load_2addr_b64 v[28:31], v15 offset0:12 offset1:18
	ds_load_2addr_b64 v[32:35], v15 offset0:24 offset1:30
	global_wb scope:SCOPE_SE
	s_wait_dscnt 0x0
	s_barrier_signal -1
	s_barrier_wait -1
	global_inv scope:SCOPE_SE
	v_add_f32_e32 v45, v27, v31
	v_sub_f32_e32 v44, v31, v35
	v_dual_add_f32 v31, v31, v35 :: v_dual_add_f32 v42, v26, v30
	v_add_f32_e32 v43, v30, v34
	v_sub_f32_e32 v30, v30, v34
	s_delay_alu instid0(VALU_DEP_3) | instskip(SKIP_1) | instid1(VALU_DEP_4)
	v_dual_add_f32 v38, v24, v28 :: v_dual_fmac_f32 v27, -0.5, v31
	v_sub_f32_e32 v40, v29, v33
	v_fma_f32 v26, -0.5, v43, v26
	s_delay_alu instid0(VALU_DEP_3) | instskip(SKIP_4) | instid1(VALU_DEP_3)
	v_fmamk_f32 v31, v30, 0x3f5db3d7, v27
	v_fmac_f32_e32 v27, 0xbf5db3d7, v30
	v_add_f32_e32 v39, v28, v32
	v_dual_sub_f32 v28, v28, v32 :: v_dual_add_f32 v41, v25, v29
	v_dual_add_f32 v29, v29, v33 :: v_dual_add_f32 v32, v38, v32
	v_fma_f32 v38, -0.5, v39, v24
	v_mul_f32_e32 v43, 0.5, v31
	s_delay_alu instid0(VALU_DEP_3) | instskip(SKIP_1) | instid1(VALU_DEP_1)
	v_fma_f32 v39, -0.5, v29, v25
	v_dual_add_f32 v29, v42, v34 :: v_dual_mul_f32 v42, 0xbf5db3d7, v27
	v_sub_f32_e32 v30, v32, v29
	v_dual_add_f32 v34, v45, v35 :: v_dual_fmamk_f32 v35, v40, 0xbf5db3d7, v38
	v_fmac_f32_e32 v38, 0x3f5db3d7, v40
	v_fmamk_f32 v40, v28, 0x3f5db3d7, v39
	v_dual_fmac_f32 v39, 0xbf5db3d7, v28 :: v_dual_fmamk_f32 v28, v44, 0xbf5db3d7, v26
	v_dual_fmac_f32 v26, 0x3f5db3d7, v44 :: v_dual_add_f32 v33, v41, v33
	s_delay_alu instid0(VALU_DEP_2) | instskip(NEXT) | instid1(VALU_DEP_2)
	v_dual_mul_f32 v44, -0.5, v27 :: v_dual_fmac_f32 v43, 0x3f5db3d7, v28
	v_dual_fmac_f32 v42, -0.5, v26 :: v_dual_mul_f32 v41, 0xbf5db3d7, v31
	s_delay_alu instid0(VALU_DEP_3) | instskip(SKIP_1) | instid1(VALU_DEP_4)
	v_add_f32_e32 v25, v33, v34
	v_sub_f32_e32 v31, v33, v34
	v_fmac_f32_e32 v44, 0x3f5db3d7, v26
	s_delay_alu instid0(VALU_DEP_4) | instskip(SKIP_1) | instid1(VALU_DEP_2)
	v_dual_sub_f32 v34, v38, v42 :: v_dual_fmac_f32 v41, 0.5, v28
	v_dual_add_f32 v28, v38, v42 :: v_dual_add_f32 v27, v40, v43
	v_dual_sub_f32 v33, v40, v43 :: v_dual_add_f32 v26, v35, v41
	v_add_f32_e32 v24, v32, v29
	v_sub_f32_e32 v32, v35, v41
	v_add_f32_e32 v29, v39, v44
	v_sub_f32_e32 v35, v39, v44
	ds_store_b128 v51, v[24:27]
	ds_store_b128 v51, v[28:31] offset:16
	ds_store_b128 v51, v[32:35] offset:32
	global_wb scope:SCOPE_SE
	s_wait_dscnt 0x0
	s_barrier_signal -1
	s_barrier_wait -1
	global_inv scope:SCOPE_SE
	ds_load_2addr_b64 v[24:27], v15 offset1:6
	ds_load_2addr_b64 v[28:31], v15 offset0:12 offset1:18
	ds_load_2addr_b64 v[32:35], v15 offset0:24 offset1:30
	s_wait_dscnt 0x2
	v_mul_f32_e32 v38, v17, v27
	s_wait_dscnt 0x1
	v_dual_mul_f32 v40, v21, v31 :: v_dual_mul_f32 v39, v19, v29
	s_wait_dscnt 0x0
	v_dual_mul_f32 v41, v23, v33 :: v_dual_mul_f32 v42, v37, v35
	v_fmac_f32_e32 v38, v16, v26
	s_delay_alu instid0(VALU_DEP_3) | instskip(NEXT) | instid1(VALU_DEP_3)
	v_dual_fmac_f32 v40, v20, v30 :: v_dual_fmac_f32 v39, v18, v28
	v_fmac_f32_e32 v41, v22, v32
	v_mul_f32_e32 v17, v17, v26
	v_dual_fmac_f32 v42, v36, v34 :: v_dual_mul_f32 v19, v19, v28
	s_delay_alu instid0(VALU_DEP_4) | instskip(SKIP_1) | instid1(VALU_DEP_4)
	v_add_f32_e32 v28, v38, v40
	v_mul_f32_e32 v23, v23, v32
	v_fma_f32 v26, v16, v27, -v17
	s_delay_alu instid0(VALU_DEP_4)
	v_sub_f32_e32 v32, v40, v42
	v_fma_f32 v16, v18, v29, -v19
	v_sub_f32_e32 v27, v39, v41
	v_fma_f32 v18, v22, v33, -v23
	v_mul_f32_e32 v37, v37, v34
	v_add_f32_e32 v29, v40, v42
	s_delay_alu instid0(VALU_DEP_3) | instskip(SKIP_1) | instid1(VALU_DEP_3)
	v_dual_add_f32 v23, v25, v16 :: v_dual_sub_f32 v22, v16, v18
	v_add_f32_e32 v16, v16, v18
	v_dual_mul_f32 v21, v21, v30 :: v_dual_fmac_f32 v38, -0.5, v29
	s_delay_alu instid0(VALU_DEP_2) | instskip(NEXT) | instid1(VALU_DEP_2)
	v_fma_f32 v34, -0.5, v16, v25
	v_fma_f32 v17, v20, v31, -v21
	s_delay_alu instid0(VALU_DEP_2) | instskip(SKIP_2) | instid1(VALU_DEP_4)
	v_dual_add_f32 v20, v24, v39 :: v_dual_fmamk_f32 v25, v27, 0x3f5db3d7, v34
	v_fmac_f32_e32 v34, 0xbf5db3d7, v27
	v_fma_f32 v19, v36, v35, -v37
	v_add_f32_e32 v31, v26, v17
	s_delay_alu instid0(VALU_DEP_4) | instskip(NEXT) | instid1(VALU_DEP_3)
	v_add_f32_e32 v20, v20, v41
	v_dual_sub_f32 v30, v17, v19 :: v_dual_add_f32 v21, v39, v41
	s_delay_alu instid0(VALU_DEP_1) | instskip(NEXT) | instid1(VALU_DEP_1)
	v_fma_f32 v33, -0.5, v21, v24
	v_dual_fmamk_f32 v24, v22, 0xbf5db3d7, v33 :: v_dual_add_f32 v21, v23, v18
	v_dual_add_f32 v18, v28, v42 :: v_dual_add_f32 v17, v17, v19
	v_fmac_f32_e32 v33, 0x3f5db3d7, v22
	v_fmamk_f32 v22, v30, 0xbf5db3d7, v38
	v_fmac_f32_e32 v38, 0x3f5db3d7, v30
	s_delay_alu instid0(VALU_DEP_4) | instskip(SKIP_2) | instid1(VALU_DEP_1)
	v_add_f32_e32 v16, v20, v18
	v_sub_f32_e32 v18, v20, v18
	v_fmac_f32_e32 v26, -0.5, v17
	v_fmamk_f32 v23, v32, 0x3f5db3d7, v26
	s_delay_alu instid0(VALU_DEP_1) | instskip(NEXT) | instid1(VALU_DEP_1)
	v_dual_fmac_f32 v26, 0xbf5db3d7, v32 :: v_dual_mul_f32 v27, 0xbf5db3d7, v23
	v_dual_mul_f32 v28, 0xbf5db3d7, v26 :: v_dual_mul_f32 v29, 0.5, v23
	v_dual_mul_f32 v30, -0.5, v26 :: v_dual_add_f32 v19, v31, v19
	s_delay_alu instid0(VALU_DEP_3) | instskip(NEXT) | instid1(VALU_DEP_3)
	v_fmac_f32_e32 v27, 0.5, v22
	v_fmac_f32_e32 v28, -0.5, v38
	s_delay_alu instid0(VALU_DEP_4) | instskip(NEXT) | instid1(VALU_DEP_4)
	v_fmac_f32_e32 v29, 0x3f5db3d7, v22
	v_fmac_f32_e32 v30, 0x3f5db3d7, v38
	s_delay_alu instid0(VALU_DEP_4)
	v_add_f32_e32 v20, v24, v27
	v_add_f32_e32 v17, v21, v19
	v_sub_f32_e32 v19, v21, v19
	v_sub_f32_e32 v24, v24, v27
	;; [unrolled: 1-line block ×3, first 2 shown]
	v_add_f32_e32 v21, v25, v29
	v_dual_add_f32 v22, v33, v28 :: v_dual_add_f32 v23, v34, v30
	v_sub_f32_e32 v25, v25, v29
	v_sub_f32_e32 v27, v34, v30
	ds_store_2addr_b64 v15, v[16:17], v[20:21] offset1:6
	ds_store_2addr_b64 v15, v[22:23], v[18:19] offset0:12 offset1:18
	ds_store_2addr_b64 v15, v[24:25], v[26:27] offset0:24 offset1:30
	global_wb scope:SCOPE_SE
	s_wait_dscnt 0x0
	s_barrier_signal -1
	s_barrier_wait -1
	global_inv scope:SCOPE_SE
	ds_load_2addr_b64 v[16:19], v15 offset1:6
	ds_load_2addr_b64 v[20:23], v15 offset0:12 offset1:18
	ds_load_2addr_b64 v[24:27], v15 offset0:24 offset1:30
	s_wait_dscnt 0x2
	v_mul_f32_e32 v15, v7, v17
	v_dual_mul_f32 v7, v7, v16 :: v_dual_mul_f32 v28, v5, v19
	v_mul_f32_e32 v5, v5, v18
	s_wait_dscnt 0x1
	v_mul_f32_e32 v29, v3, v21
	v_dual_mul_f32 v3, v3, v20 :: v_dual_mul_f32 v30, v9, v23
	v_mul_f32_e32 v9, v9, v22
	;; [unrolled: 4-line block ×3, first 2 shown]
	v_fmac_f32_e32 v15, v6, v16
	v_fma_f32 v6, v6, v17, -v7
	v_fmac_f32_e32 v28, v4, v18
	v_fma_f32 v16, v4, v19, -v5
	;; [unrolled: 2-line block ×6, first 2 shown]
	v_cvt_f64_f32_e32 v[2:3], v15
	v_cvt_f64_f32_e32 v[4:5], v6
	;; [unrolled: 1-line block ×12, first 2 shown]
	v_mad_co_u64_u32 v[27:28], null, s6, v1, 0
	v_mad_co_u64_u32 v[29:30], null, s4, v0, 0
	s_delay_alu instid0(VALU_DEP_1) | instskip(NEXT) | instid1(VALU_DEP_1)
	v_mad_co_u64_u32 v[31:32], null, s7, v1, v[28:29]
	v_mad_co_u64_u32 v[0:1], null, s5, v0, v[30:31]
	v_mov_b32_e32 v28, v31
	s_delay_alu instid0(VALU_DEP_1)
	v_lshlrev_b64_e32 v[27:28], 3, v[27:28]
	s_wait_alu 0xfffe
	v_mul_f64_e32 v[1:2], s[2:3], v[2:3]
	v_mul_f64_e32 v[3:4], s[2:3], v[4:5]
	;; [unrolled: 1-line block ×12, first 2 shown]
	v_mov_b32_e32 v30, v0
	v_add_co_u32 v33, vcc_lo, s0, v27
	s_wait_alu 0xfffd
	v_add_co_ci_u32_e32 v34, vcc_lo, s1, v28, vcc_lo
	s_delay_alu instid0(VALU_DEP_3) | instskip(SKIP_1) | instid1(VALU_DEP_1)
	v_lshlrev_b64_e32 v[29:30], 3, v[29:30]
	s_mul_u64 s[0:1], s[4:5], 48
	v_add_co_u32 v27, vcc_lo, v33, v29
	s_wait_alu 0xfffd
	s_delay_alu instid0(VALU_DEP_2)
	v_add_co_ci_u32_e32 v28, vcc_lo, v34, v30, vcc_lo
	v_mad_co_u64_u32 v[29:30], null, s4, v14, 0
	s_wait_alu 0xfffe
	v_add_co_u32 v31, vcc_lo, v27, s0
	s_wait_alu 0xfffd
	v_add_co_ci_u32_e32 v32, vcc_lo, s1, v28, vcc_lo
	v_cvt_f32_f64_e32 v0, v[1:2]
	v_cvt_f32_f64_e32 v1, v[3:4]
	;; [unrolled: 1-line block ×12, first 2 shown]
	v_add_co_u32 v12, vcc_lo, v31, s0
	s_wait_alu 0xfffd
	v_add_co_ci_u32_e32 v13, vcc_lo, s1, v32, vcc_lo
	v_mov_b32_e32 v15, v30
	s_delay_alu instid0(VALU_DEP_3) | instskip(SKIP_1) | instid1(VALU_DEP_3)
	v_add_co_u32 v16, vcc_lo, v12, s0
	s_wait_alu 0xfffd
	v_add_co_ci_u32_e32 v17, vcc_lo, s1, v13, vcc_lo
	s_delay_alu instid0(VALU_DEP_2) | instskip(NEXT) | instid1(VALU_DEP_2)
	v_mad_co_u64_u32 v[14:15], null, s5, v14, v[15:16]
	v_mad_co_u64_u32 v[18:19], null, 0x60, s4, v[16:17]
	s_delay_alu instid0(VALU_DEP_2) | instskip(NEXT) | instid1(VALU_DEP_2)
	v_mov_b32_e32 v30, v14
	v_mov_b32_e32 v14, v19
	s_delay_alu instid0(VALU_DEP_2) | instskip(NEXT) | instid1(VALU_DEP_2)
	v_lshlrev_b64_e32 v[19:20], 3, v[29:30]
	v_mad_co_u64_u32 v[14:15], null, 0x60, s5, v[14:15]
	s_delay_alu instid0(VALU_DEP_2) | instskip(SKIP_1) | instid1(VALU_DEP_3)
	v_add_co_u32 v21, vcc_lo, v33, v19
	s_wait_alu 0xfffd
	v_add_co_ci_u32_e32 v22, vcc_lo, v34, v20, vcc_lo
	s_delay_alu instid0(VALU_DEP_3)
	v_mov_b32_e32 v19, v14
	s_clause 0x5
	global_store_b64 v[27:28], v[0:1], off
	global_store_b64 v[31:32], v[2:3], off
	;; [unrolled: 1-line block ×6, first 2 shown]
.LBB0_2:
	s_nop 0
	s_sendmsg sendmsg(MSG_DEALLOC_VGPRS)
	s_endpgm
	.section	.rodata,"a",@progbits
	.p2align	6, 0x0
	.amdhsa_kernel bluestein_single_back_len36_dim1_sp_op_CI_CI
		.amdhsa_group_segment_fixed_size 2880
		.amdhsa_private_segment_fixed_size 0
		.amdhsa_kernarg_size 104
		.amdhsa_user_sgpr_count 2
		.amdhsa_user_sgpr_dispatch_ptr 0
		.amdhsa_user_sgpr_queue_ptr 0
		.amdhsa_user_sgpr_kernarg_segment_ptr 1
		.amdhsa_user_sgpr_dispatch_id 0
		.amdhsa_user_sgpr_private_segment_size 0
		.amdhsa_wavefront_size32 1
		.amdhsa_uses_dynamic_stack 0
		.amdhsa_enable_private_segment 0
		.amdhsa_system_sgpr_workgroup_id_x 1
		.amdhsa_system_sgpr_workgroup_id_y 0
		.amdhsa_system_sgpr_workgroup_id_z 0
		.amdhsa_system_sgpr_workgroup_info 0
		.amdhsa_system_vgpr_workitem_id 0
		.amdhsa_next_free_vgpr 58
		.amdhsa_next_free_sgpr 20
		.amdhsa_reserve_vcc 1
		.amdhsa_float_round_mode_32 0
		.amdhsa_float_round_mode_16_64 0
		.amdhsa_float_denorm_mode_32 3
		.amdhsa_float_denorm_mode_16_64 3
		.amdhsa_fp16_overflow 0
		.amdhsa_workgroup_processor_mode 1
		.amdhsa_memory_ordered 1
		.amdhsa_forward_progress 0
		.amdhsa_round_robin_scheduling 0
		.amdhsa_exception_fp_ieee_invalid_op 0
		.amdhsa_exception_fp_denorm_src 0
		.amdhsa_exception_fp_ieee_div_zero 0
		.amdhsa_exception_fp_ieee_overflow 0
		.amdhsa_exception_fp_ieee_underflow 0
		.amdhsa_exception_fp_ieee_inexact 0
		.amdhsa_exception_int_div_zero 0
	.end_amdhsa_kernel
	.text
.Lfunc_end0:
	.size	bluestein_single_back_len36_dim1_sp_op_CI_CI, .Lfunc_end0-bluestein_single_back_len36_dim1_sp_op_CI_CI
                                        ; -- End function
	.section	.AMDGPU.csdata,"",@progbits
; Kernel info:
; codeLenInByte = 3624
; NumSgprs: 22
; NumVgprs: 58
; ScratchSize: 0
; MemoryBound: 0
; FloatMode: 240
; IeeeMode: 1
; LDSByteSize: 2880 bytes/workgroup (compile time only)
; SGPRBlocks: 2
; VGPRBlocks: 7
; NumSGPRsForWavesPerEU: 22
; NumVGPRsForWavesPerEU: 58
; Occupancy: 16
; WaveLimiterHint : 1
; COMPUTE_PGM_RSRC2:SCRATCH_EN: 0
; COMPUTE_PGM_RSRC2:USER_SGPR: 2
; COMPUTE_PGM_RSRC2:TRAP_HANDLER: 0
; COMPUTE_PGM_RSRC2:TGID_X_EN: 1
; COMPUTE_PGM_RSRC2:TGID_Y_EN: 0
; COMPUTE_PGM_RSRC2:TGID_Z_EN: 0
; COMPUTE_PGM_RSRC2:TIDIG_COMP_CNT: 0
	.text
	.p2alignl 7, 3214868480
	.fill 96, 4, 3214868480
	.type	__hip_cuid_961efd5fde7a107f,@object ; @__hip_cuid_961efd5fde7a107f
	.section	.bss,"aw",@nobits
	.globl	__hip_cuid_961efd5fde7a107f
__hip_cuid_961efd5fde7a107f:
	.byte	0                               ; 0x0
	.size	__hip_cuid_961efd5fde7a107f, 1

	.ident	"AMD clang version 19.0.0git (https://github.com/RadeonOpenCompute/llvm-project roc-6.4.0 25133 c7fe45cf4b819c5991fe208aaa96edf142730f1d)"
	.section	".note.GNU-stack","",@progbits
	.addrsig
	.addrsig_sym __hip_cuid_961efd5fde7a107f
	.amdgpu_metadata
---
amdhsa.kernels:
  - .args:
      - .actual_access:  read_only
        .address_space:  global
        .offset:         0
        .size:           8
        .value_kind:     global_buffer
      - .actual_access:  read_only
        .address_space:  global
        .offset:         8
        .size:           8
        .value_kind:     global_buffer
      - .actual_access:  read_only
        .address_space:  global
        .offset:         16
        .size:           8
        .value_kind:     global_buffer
      - .actual_access:  read_only
        .address_space:  global
        .offset:         24
        .size:           8
        .value_kind:     global_buffer
      - .actual_access:  read_only
        .address_space:  global
        .offset:         32
        .size:           8
        .value_kind:     global_buffer
      - .offset:         40
        .size:           8
        .value_kind:     by_value
      - .address_space:  global
        .offset:         48
        .size:           8
        .value_kind:     global_buffer
      - .address_space:  global
        .offset:         56
        .size:           8
        .value_kind:     global_buffer
      - .address_space:  global
        .offset:         64
        .size:           8
        .value_kind:     global_buffer
      - .address_space:  global
        .offset:         72
        .size:           8
        .value_kind:     global_buffer
      - .offset:         80
        .size:           4
        .value_kind:     by_value
      - .address_space:  global
        .offset:         88
        .size:           8
        .value_kind:     global_buffer
      - .address_space:  global
        .offset:         96
        .size:           8
        .value_kind:     global_buffer
    .group_segment_fixed_size: 2880
    .kernarg_segment_align: 8
    .kernarg_segment_size: 104
    .language:       OpenCL C
    .language_version:
      - 2
      - 0
    .max_flat_workgroup_size: 60
    .name:           bluestein_single_back_len36_dim1_sp_op_CI_CI
    .private_segment_fixed_size: 0
    .sgpr_count:     22
    .sgpr_spill_count: 0
    .symbol:         bluestein_single_back_len36_dim1_sp_op_CI_CI.kd
    .uniform_work_group_size: 1
    .uses_dynamic_stack: false
    .vgpr_count:     58
    .vgpr_spill_count: 0
    .wavefront_size: 32
    .workgroup_processor_mode: 1
amdhsa.target:   amdgcn-amd-amdhsa--gfx1201
amdhsa.version:
  - 1
  - 2
...

	.end_amdgpu_metadata
